;; amdgpu-corpus repo=ROCm/rocFFT kind=compiled arch=gfx906 opt=O3
	.text
	.amdgcn_target "amdgcn-amd-amdhsa--gfx906"
	.amdhsa_code_object_version 6
	.protected	fft_rtc_back_len56_factors_7_8_wgs_128_tpt_8_dp_op_CI_CI_sbcr ; -- Begin function fft_rtc_back_len56_factors_7_8_wgs_128_tpt_8_dp_op_CI_CI_sbcr
	.globl	fft_rtc_back_len56_factors_7_8_wgs_128_tpt_8_dp_op_CI_CI_sbcr
	.p2align	8
	.type	fft_rtc_back_len56_factors_7_8_wgs_128_tpt_8_dp_op_CI_CI_sbcr,@function
fft_rtc_back_len56_factors_7_8_wgs_128_tpt_8_dp_op_CI_CI_sbcr: ; @fft_rtc_back_len56_factors_7_8_wgs_128_tpt_8_dp_op_CI_CI_sbcr
; %bb.0:
	s_load_dwordx4 s[24:27], s[4:5], 0x10
	s_load_dwordx2 s[30:31], s[4:5], 0x20
	s_mov_b32 s7, 0
	s_mov_b64 s[28:29], 0
	s_waitcnt lgkmcnt(0)
	s_load_dwordx2 s[2:3], s[24:25], 0x8
	s_waitcnt lgkmcnt(0)
	s_add_u32 s0, s2, -1
	s_addc_u32 s1, s3, -1
	s_lshr_b64 s[0:1], s[0:1], 4
	s_add_u32 s34, s0, 1
	s_addc_u32 s35, s1, 0
	v_mov_b32_e32 v1, s34
	v_mov_b32_e32 v2, s35
	v_cmp_lt_u64_e32 vcc, s[6:7], v[1:2]
	s_cbranch_vccnz .LBB0_2
; %bb.1:
	v_cvt_f32_u32_e32 v1, s34
	s_sub_i32 s0, 0, s34
	s_mov_b32 s29, s7
	v_rcp_iflag_f32_e32 v1, v1
	v_mul_f32_e32 v1, 0x4f7ffffe, v1
	v_cvt_u32_f32_e32 v1, v1
	v_readfirstlane_b32 s1, v1
	s_mul_i32 s0, s0, s1
	s_mul_hi_u32 s0, s1, s0
	s_add_i32 s1, s1, s0
	s_mul_hi_u32 s0, s6, s1
	s_mul_i32 s8, s0, s34
	s_sub_i32 s8, s6, s8
	s_add_i32 s1, s0, 1
	s_sub_i32 s9, s8, s34
	s_cmp_ge_u32 s8, s34
	s_cselect_b32 s0, s1, s0
	s_cselect_b32 s8, s9, s8
	s_add_i32 s1, s0, 1
	s_cmp_ge_u32 s8, s34
	s_cselect_b32 s28, s1, s0
.LBB0_2:
	s_load_dwordx4 s[12:15], s[4:5], 0x58
	s_load_dwordx4 s[16:19], s[4:5], 0x0
	s_load_dwordx4 s[20:23], s[26:27], 0x0
	s_mul_i32 s0, s28, s35
	s_mul_hi_u32 s1, s28, s34
	s_add_i32 s1, s1, s0
	s_mul_i32 s0, s28, s34
	s_sub_u32 s0, s6, s0
	s_subb_u32 s1, 0, s1
	v_mov_b32_e32 v1, s0
	s_load_dwordx4 s[8:11], s[30:31], 0x0
	v_alignbit_b32 v1, s1, v1, 28
	s_waitcnt lgkmcnt(0)
	v_mul_lo_u32 v2, s22, v1
	s_lshl_b64 s[4:5], s[0:1], 4
	s_mul_hi_u32 s0, s22, s4
	v_mul_lo_u32 v3, s10, v1
	v_add_u32_e32 v2, s0, v2
	s_mul_i32 s0, s23, s4
	v_add_u32_e32 v2, s0, v2
	s_mul_i32 s0, s22, s4
	v_mov_b32_e32 v1, s0
	s_mul_hi_u32 s0, s10, s4
	v_add_u32_e32 v3, s0, v3
	s_mul_i32 s0, s11, s4
	v_add_u32_e32 v33, s0, v3
	v_cmp_lt_u64_e64 s[0:1], s[18:19], 3
	s_mul_i32 s33, s10, s4
	v_mov_b32_e32 v34, s33
	s_and_b64 vcc, exec, s[0:1]
	s_cbranch_vccnz .LBB0_11
; %bb.3:
	s_add_u32 s36, s30, 16
	s_addc_u32 s37, s31, 0
	s_add_u32 s38, s26, 16
	s_addc_u32 s39, s27, 0
	s_add_u32 s24, s24, 16
	v_mov_b32_e32 v3, s18
	s_addc_u32 s25, s25, 0
	s_mov_b64 s[40:41], 2
	s_mov_b32 s42, 0
	v_mov_b32_e32 v4, s19
	s_branch .LBB0_5
.LBB0_4:                                ;   in Loop: Header=BB0_5 Depth=1
	s_mul_i32 s33, s44, s35
	s_mul_hi_u32 s35, s44, s34
	s_add_i32 s33, s35, s33
	s_mul_i32 s35, s45, s34
	s_add_i32 s35, s33, s35
	s_mul_i32 s33, s0, s45
	s_mul_hi_u32 s43, s0, s44
	s_load_dwordx2 s[46:47], s[38:39], 0x0
	s_add_i32 s33, s43, s33
	s_mul_i32 s43, s1, s44
	s_add_i32 s33, s33, s43
	s_mul_i32 s43, s0, s44
	s_sub_u32 s43, s28, s43
	s_subb_u32 s33, s29, s33
	s_waitcnt lgkmcnt(0)
	s_mul_i32 s28, s46, s33
	s_mul_hi_u32 s29, s46, s43
	s_add_i32 s28, s29, s28
	s_mul_i32 s29, s47, s43
	s_add_i32 s28, s28, s29
	v_mov_b32_e32 v5, s28
	s_load_dwordx2 s[28:29], s[36:37], 0x0
	s_mul_i32 s34, s44, s34
	s_mul_i32 s44, s46, s43
	v_add_co_u32_e32 v1, vcc, s44, v1
	s_waitcnt lgkmcnt(0)
	s_mul_i32 s33, s28, s33
	s_mul_hi_u32 s44, s28, s43
	s_add_i32 s33, s44, s33
	s_mul_i32 s29, s29, s43
	s_add_i32 s29, s33, s29
	s_add_u32 s40, s40, 1
	s_addc_u32 s41, s41, 0
	v_addc_co_u32_e32 v2, vcc, v5, v2, vcc
	s_mul_i32 s28, s28, s43
	s_add_u32 s36, s36, 8
	v_mov_b32_e32 v5, s29
	v_add_co_u32_e32 v34, vcc, s28, v34
	s_addc_u32 s37, s37, 0
	v_addc_co_u32_e32 v33, vcc, v5, v33, vcc
	s_add_u32 s38, s38, 8
	s_addc_u32 s39, s39, 0
	v_cmp_ge_u64_e32 vcc, s[40:41], v[3:4]
	s_add_u32 s24, s24, 8
	s_addc_u32 s25, s25, 0
	s_mov_b64 s[28:29], s[0:1]
	s_cbranch_vccnz .LBB0_9
.LBB0_5:                                ; =>This Inner Loop Header: Depth=1
	s_load_dwordx2 s[44:45], s[24:25], 0x0
	s_waitcnt lgkmcnt(0)
	s_or_b64 s[0:1], s[28:29], s[44:45]
	s_mov_b32 s43, s1
	s_cmp_lg_u64 s[42:43], 0
	s_cbranch_scc0 .LBB0_7
; %bb.6:                                ;   in Loop: Header=BB0_5 Depth=1
	v_cvt_f32_u32_e32 v5, s44
	v_cvt_f32_u32_e32 v6, s45
	s_sub_u32 s0, 0, s44
	s_subb_u32 s1, 0, s45
	v_mac_f32_e32 v5, 0x4f800000, v6
	v_rcp_f32_e32 v5, v5
	v_mul_f32_e32 v5, 0x5f7ffffc, v5
	v_mul_f32_e32 v6, 0x2f800000, v5
	v_trunc_f32_e32 v6, v6
	v_mac_f32_e32 v5, 0xcf800000, v6
	v_cvt_u32_f32_e32 v6, v6
	v_cvt_u32_f32_e32 v5, v5
	v_readfirstlane_b32 s33, v6
	v_readfirstlane_b32 s43, v5
	s_mul_i32 s46, s0, s33
	s_mul_hi_u32 s48, s0, s43
	s_mul_i32 s47, s1, s43
	s_add_i32 s46, s48, s46
	s_mul_i32 s49, s0, s43
	s_add_i32 s46, s46, s47
	s_mul_hi_u32 s47, s43, s46
	s_mul_i32 s48, s43, s46
	s_mul_hi_u32 s43, s43, s49
	s_add_u32 s43, s43, s48
	s_addc_u32 s47, 0, s47
	s_mul_hi_u32 s50, s33, s49
	s_mul_i32 s49, s33, s49
	s_add_u32 s43, s43, s49
	s_mul_hi_u32 s48, s33, s46
	s_addc_u32 s43, s47, s50
	s_addc_u32 s47, s48, 0
	s_mul_i32 s46, s33, s46
	s_add_u32 s43, s43, s46
	s_addc_u32 s46, 0, s47
	v_add_co_u32_e32 v5, vcc, s43, v5
	s_cmp_lg_u64 vcc, 0
	s_addc_u32 s33, s33, s46
	v_readfirstlane_b32 s46, v5
	s_mul_i32 s43, s0, s33
	s_mul_hi_u32 s47, s0, s46
	s_add_i32 s43, s47, s43
	s_mul_i32 s1, s1, s46
	s_add_i32 s43, s43, s1
	s_mul_i32 s0, s0, s46
	s_mul_hi_u32 s47, s33, s0
	s_mul_i32 s48, s33, s0
	s_mul_i32 s50, s46, s43
	s_mul_hi_u32 s0, s46, s0
	s_mul_hi_u32 s49, s46, s43
	s_add_u32 s0, s0, s50
	s_addc_u32 s46, 0, s49
	s_add_u32 s0, s0, s48
	s_mul_hi_u32 s1, s33, s43
	s_addc_u32 s0, s46, s47
	s_addc_u32 s1, s1, 0
	s_mul_i32 s43, s33, s43
	s_add_u32 s0, s0, s43
	s_addc_u32 s1, 0, s1
	v_add_co_u32_e32 v5, vcc, s0, v5
	s_cmp_lg_u64 vcc, 0
	s_addc_u32 s0, s33, s1
	v_readfirstlane_b32 s43, v5
	s_mul_i32 s33, s28, s0
	s_mul_hi_u32 s46, s28, s43
	s_mul_hi_u32 s1, s28, s0
	s_add_u32 s33, s46, s33
	s_addc_u32 s1, 0, s1
	s_mul_hi_u32 s47, s29, s43
	s_mul_i32 s43, s29, s43
	s_add_u32 s33, s33, s43
	s_mul_hi_u32 s46, s29, s0
	s_addc_u32 s1, s1, s47
	s_addc_u32 s33, s46, 0
	s_mul_i32 s0, s29, s0
	s_add_u32 s43, s1, s0
	s_addc_u32 s33, 0, s33
	s_mul_i32 s0, s44, s33
	s_mul_hi_u32 s1, s44, s43
	s_add_i32 s0, s1, s0
	s_mul_i32 s1, s45, s43
	s_add_i32 s46, s0, s1
	s_mul_i32 s1, s44, s43
	v_mov_b32_e32 v5, s1
	s_sub_i32 s0, s29, s46
	v_sub_co_u32_e32 v5, vcc, s28, v5
	s_cmp_lg_u64 vcc, 0
	s_subb_u32 s47, s0, s45
	v_subrev_co_u32_e64 v6, s[0:1], s44, v5
	s_cmp_lg_u64 s[0:1], 0
	s_subb_u32 s0, s47, 0
	s_cmp_ge_u32 s0, s45
	v_readfirstlane_b32 s47, v6
	s_cselect_b32 s1, -1, 0
	s_cmp_ge_u32 s47, s44
	s_cselect_b32 s47, -1, 0
	s_cmp_eq_u32 s0, s45
	s_cselect_b32 s0, s47, s1
	s_add_u32 s1, s43, 1
	s_addc_u32 s47, s33, 0
	s_add_u32 s48, s43, 2
	s_addc_u32 s49, s33, 0
	s_cmp_lg_u32 s0, 0
	s_cselect_b32 s0, s48, s1
	s_cselect_b32 s1, s49, s47
	s_cmp_lg_u64 vcc, 0
	s_subb_u32 s46, s29, s46
	s_cmp_ge_u32 s46, s45
	v_readfirstlane_b32 s48, v5
	s_cselect_b32 s47, -1, 0
	s_cmp_ge_u32 s48, s44
	s_cselect_b32 s48, -1, 0
	s_cmp_eq_u32 s46, s45
	s_cselect_b32 s46, s48, s47
	s_cmp_lg_u32 s46, 0
	s_cselect_b32 s1, s1, s33
	s_cselect_b32 s0, s0, s43
	s_cbranch_execnz .LBB0_4
	s_branch .LBB0_8
.LBB0_7:                                ;   in Loop: Header=BB0_5 Depth=1
                                        ; implicit-def: $sgpr0_sgpr1
.LBB0_8:                                ;   in Loop: Header=BB0_5 Depth=1
	v_cvt_f32_u32_e32 v5, s44
	s_sub_i32 s0, 0, s44
	v_rcp_iflag_f32_e32 v5, v5
	v_mul_f32_e32 v5, 0x4f7ffffe, v5
	v_cvt_u32_f32_e32 v5, v5
	v_readfirstlane_b32 s1, v5
	s_mul_i32 s0, s0, s1
	s_mul_hi_u32 s0, s1, s0
	s_add_i32 s1, s1, s0
	s_mul_hi_u32 s0, s28, s1
	s_mul_i32 s33, s0, s44
	s_sub_i32 s33, s28, s33
	s_add_i32 s1, s0, 1
	s_sub_i32 s43, s33, s44
	s_cmp_ge_u32 s33, s44
	s_cselect_b32 s0, s1, s0
	s_cselect_b32 s33, s43, s33
	s_add_i32 s1, s0, 1
	s_cmp_ge_u32 s33, s44
	s_cselect_b32 s0, s1, s0
	s_mov_b32 s1, s42
	s_branch .LBB0_4
.LBB0_9:
	v_mov_b32_e32 v3, s34
	v_mov_b32_e32 v4, s35
	v_cmp_lt_u64_e32 vcc, s[6:7], v[3:4]
	s_mov_b64 s[28:29], 0
	s_cbranch_vccnz .LBB0_11
; %bb.10:
	v_cvt_f32_u32_e32 v3, s34
	s_sub_i32 s0, 0, s34
	v_rcp_iflag_f32_e32 v3, v3
	v_mul_f32_e32 v3, 0x4f7ffffe, v3
	v_cvt_u32_f32_e32 v3, v3
	v_readfirstlane_b32 s1, v3
	s_mul_i32 s0, s0, s1
	s_mul_hi_u32 s0, s1, s0
	s_add_i32 s1, s1, s0
	s_mul_hi_u32 s0, s6, s1
	s_mul_i32 s7, s0, s34
	s_sub_i32 s6, s6, s7
	s_add_i32 s1, s0, 1
	s_sub_i32 s7, s6, s34
	s_cmp_ge_u32 s6, s34
	s_cselect_b32 s0, s1, s0
	s_cselect_b32 s6, s7, s6
	s_add_i32 s1, s0, 1
	s_cmp_ge_u32 s6, s34
	s_cselect_b32 s28, s1, s0
.LBB0_11:
	s_lshl_b64 s[18:19], s[18:19], 3
	s_add_u32 s6, s30, s18
	s_addc_u32 s7, s31, s19
	s_add_u32 s24, s4, 16
	v_mov_b32_e32 v5, s3
	v_and_b32_e32 v3, 15, v0
	s_addc_u32 s25, s5, 0
	v_mov_b32_e32 v4, s2
	v_or_b32_e32 v6, s4, v3
	v_mov_b32_e32 v7, s5
	v_cmp_le_u64_e64 s[0:1], s[24:25], v[4:5]
	v_cmp_gt_u64_e64 s[2:3], s[2:3], v[6:7]
	v_cmp_gt_u64_e32 vcc, s[24:25], v[4:5]
	s_or_b64 s[0:1], s[0:1], s[2:3]
	s_and_saveexec_b64 s[2:3], s[0:1]
	s_cbranch_execz .LBB0_13
; %bb.12:
	s_add_u32 s0, s26, s18
	s_addc_u32 s1, s27, s19
	s_load_dwordx2 s[0:1], s[0:1], 0x0
	v_lshrrev_b32_e32 v30, 4, v0
	v_mad_u64_u32 v[4:5], s[4:5], s22, v3, 0
	v_mad_u64_u32 v[6:7], s[4:5], s20, v30, 0
	s_waitcnt lgkmcnt(0)
	s_mul_i32 s1, s1, s28
	s_mul_hi_u32 s18, s0, s28
	v_mad_u64_u32 v[8:9], s[4:5], s23, v3, v[5:6]
	v_mov_b32_e32 v5, v7
	v_mad_u64_u32 v[9:10], s[4:5], s21, v30, v[5:6]
	s_add_i32 s1, s18, s1
	s_mul_i32 s0, s0, s28
	s_lshl_b64 s[0:1], s[0:1], 4
	s_add_u32 s0, s12, s0
	v_lshlrev_b64 v[1:2], 4, v[1:2]
	s_addc_u32 s1, s13, s1
	v_mov_b32_e32 v5, v8
	v_mov_b32_e32 v7, v9
	;; [unrolled: 1-line block ×3, first 2 shown]
	v_add_co_u32_e64 v9, s[0:1], s0, v1
	v_addc_co_u32_e64 v8, s[0:1], v8, v2, s[0:1]
	v_lshlrev_b64 v[1:2], 4, v[4:5]
	v_add_u32_e32 v10, 16, v30
	v_add_co_u32_e64 v35, s[0:1], v9, v1
	v_addc_co_u32_e64 v36, s[0:1], v8, v2, s[0:1]
	v_lshlrev_b64 v[1:2], 4, v[6:7]
	v_add_u32_e32 v8, 8, v30
	v_add_co_u32_e64 v1, s[0:1], v35, v1
	v_addc_co_u32_e64 v2, s[0:1], v36, v2, s[0:1]
	v_mad_u64_u32 v[4:5], s[0:1], s20, v8, 0
	v_mad_u64_u32 v[6:7], s[0:1], s20, v10, 0
	v_add_u32_e32 v16, 32, v30
	v_mad_u64_u32 v[12:13], s[0:1], s20, v16, 0
	v_mad_u64_u32 v[8:9], s[0:1], s21, v8, v[5:6]
	v_mov_b32_e32 v5, v7
	v_mad_u64_u32 v[9:10], s[0:1], s21, v10, v[5:6]
	v_add_u32_e32 v7, 24, v30
	v_mad_u64_u32 v[10:11], s[0:1], s20, v7, 0
	v_mov_b32_e32 v5, v11
	v_add_u32_e32 v11, 40, v30
	v_mad_u64_u32 v[20:21], s[0:1], s20, v11, 0
	v_mad_u64_u32 v[14:15], s[0:1], s21, v7, v[5:6]
	v_mov_b32_e32 v5, v13
	v_mad_u64_u32 v[15:16], s[0:1], s21, v16, v[5:6]
	v_mov_b32_e32 v5, v8
	v_mov_b32_e32 v7, v21
	v_lshlrev_b64 v[4:5], 4, v[4:5]
	v_mad_u64_u32 v[21:22], s[0:1], s21, v11, v[7:8]
	v_mov_b32_e32 v7, v9
	v_lshlrev_b64 v[6:7], 4, v[6:7]
	v_add_co_u32_e64 v24, s[0:1], v35, v4
	v_mov_b32_e32 v11, v14
	v_addc_co_u32_e64 v25, s[0:1], v36, v5, s[0:1]
	v_lshlrev_b64 v[8:9], 4, v[10:11]
	v_add_co_u32_e64 v26, s[0:1], v35, v6
	v_addc_co_u32_e64 v27, s[0:1], v36, v7, s[0:1]
	v_mov_b32_e32 v13, v15
	v_add_co_u32_e64 v28, s[0:1], v35, v8
	v_lshlrev_b64 v[22:23], 4, v[12:13]
	v_addc_co_u32_e64 v29, s[0:1], v36, v9, s[0:1]
	global_load_dwordx4 v[4:7], v[1:2], off
	global_load_dwordx4 v[8:11], v[24:25], off
	;; [unrolled: 1-line block ×4, first 2 shown]
	v_add_u32_e32 v24, 48, v30
	v_mad_u64_u32 v[1:2], s[0:1], s20, v24, 0
	v_add_co_u32_e64 v28, s[0:1], v35, v22
	v_addc_co_u32_e64 v29, s[0:1], v36, v23, s[0:1]
	v_lshlrev_b64 v[20:21], 4, v[20:21]
	v_mad_u64_u32 v[30:31], s[0:1], s21, v24, v[2:3]
	v_add_co_u32_e64 v31, s[0:1], v35, v20
	v_addc_co_u32_e64 v32, s[0:1], v36, v21, s[0:1]
	global_load_dwordx4 v[20:23], v[28:29], off
	global_load_dwordx4 v[24:27], v[31:32], off
	v_mov_b32_e32 v2, v30
	v_lshlrev_b64 v[1:2], 4, v[1:2]
	v_add_co_u32_e64 v1, s[0:1], v35, v1
	v_addc_co_u32_e64 v2, s[0:1], v36, v2, s[0:1]
	global_load_dwordx4 v[28:31], v[1:2], off
	v_mul_u32_u24_e32 v1, 0x380, v3
	v_and_b32_e32 v2, -16, v0
	v_add3_u32 v1, 0, v1, v2
	s_waitcnt vmcnt(6)
	ds_write_b128 v1, v[4:7]
	s_waitcnt vmcnt(5)
	ds_write_b128 v1, v[8:11] offset:128
	s_waitcnt vmcnt(4)
	ds_write_b128 v1, v[12:15] offset:256
	;; [unrolled: 2-line block ×6, first 2 shown]
.LBB0_13:
	s_or_b64 exec, exec, s[2:3]
	v_bfe_u32 v1, v0, 3, 4
	v_mul_u32_u24_e32 v1, 56, v1
	v_and_b32_e32 v37, 7, v0
	v_lshlrev_b32_e32 v17, 4, v1
	v_lshlrev_b32_e32 v18, 4, v37
	v_add3_u32 v35, 0, v18, v17
	s_load_dwordx2 s[4:5], s[6:7], 0x0
	s_waitcnt lgkmcnt(0)
	s_barrier
	ds_read_b128 v[1:4], v35 offset:768
	ds_read_b128 v[5:8], v35 offset:128
	;; [unrolled: 1-line block ×4, first 2 shown]
	v_add3_u32 v36, 0, v17, v18
	ds_read_b128 v[17:20], v36
	s_waitcnt lgkmcnt(3)
	v_add_f64 v[29:30], v[5:6], v[1:2]
	ds_read_b128 v[21:24], v35 offset:384
	ds_read_b128 v[25:28], v35 offset:512
	s_waitcnt lgkmcnt(3)
	v_add_f64 v[31:32], v[13:14], v[9:10]
	v_add_f64 v[38:39], v[7:8], v[3:4]
	;; [unrolled: 1-line block ×3, first 2 shown]
	v_add_f64 v[9:10], v[13:14], -v[9:10]
	s_waitcnt lgkmcnt(0)
	v_add_f64 v[42:43], v[21:22], v[25:26]
	v_add_f64 v[46:47], v[23:24], v[27:28]
	v_add_f64 v[21:22], v[25:26], -v[21:22]
	v_add_f64 v[11:12], v[15:16], -v[11:12]
	v_add_f64 v[44:45], v[31:32], v[29:30]
	v_add_f64 v[15:16], v[27:28], -v[23:24]
	v_add_f64 v[48:49], v[40:41], v[38:39]
	v_add_f64 v[5:6], v[5:6], -v[1:2]
	v_add_f64 v[7:8], v[7:8], -v[3:4]
	;; [unrolled: 1-line block ×3, first 2 shown]
	s_mov_b32 s0, 0xe976ee23
	s_mov_b32 s1, 0x3fe11646
	v_add_f64 v[13:14], v[42:43], v[44:45]
	v_add_f64 v[27:28], v[15:16], v[11:12]
	v_add_f64 v[25:26], v[46:47], v[48:49]
	s_mov_b32 s3, 0xbfd5d0dc
	s_mov_b32 s2, 0xb247c609
	;; [unrolled: 1-line block ×5, first 2 shown]
	v_add_f64 v[1:2], v[17:18], v[13:14]
	v_add_f64 v[17:18], v[21:22], v[9:10]
	;; [unrolled: 1-line block ×3, first 2 shown]
	v_add_f64 v[19:20], v[31:32], -v[29:30]
	v_add_f64 v[31:32], v[21:22], -v[9:10]
	;; [unrolled: 1-line block ×3, first 2 shown]
	v_add_f64 v[27:28], v[27:28], v[7:8]
	v_add_f64 v[29:30], v[29:30], -v[42:43]
	s_mov_b32 s19, 0x3fe948f6
	v_add_f64 v[17:18], v[17:18], v[5:6]
	v_add_f64 v[5:6], v[5:6], -v[21:22]
	v_add_f64 v[21:22], v[15:16], -v[11:12]
	v_add_f64 v[11:12], v[11:12], -v[7:8]
	v_add_f64 v[7:8], v[7:8], -v[15:16]
	v_mul_f64 v[15:16], v[31:32], s[0:1]
	v_add_f64 v[31:32], v[40:41], -v[38:39]
	v_add_f64 v[40:41], v[46:47], -v[40:41]
	;; [unrolled: 1-line block ×3, first 2 shown]
	v_mul_f64 v[29:30], v[29:30], s[18:19]
	v_mul_f64 v[21:22], v[21:22], s[0:1]
	s_mov_b32 s0, 0x429ad128
	s_mov_b32 s1, 0xbfebfeb5
	v_mul_f64 v[42:43], v[9:10], s[0:1]
	v_fma_f64 v[9:10], v[9:10], s[0:1], -v[15:16]
	v_fma_f64 v[15:16], v[5:6], s[2:3], v[15:16]
	v_mul_f64 v[46:47], v[40:41], s[6:7]
	v_mul_f64 v[48:49], v[11:12], s[0:1]
	v_fma_f64 v[44:45], v[7:8], s[2:3], v[21:22]
	s_mov_b32 s3, 0x3fd5d0dc
	v_mul_f64 v[38:39], v[38:39], s[18:19]
	v_fma_f64 v[5:6], v[5:6], s[2:3], -v[42:43]
	v_mul_f64 v[42:43], v[23:24], s[6:7]
	s_mov_b32 s13, 0x3fe77f67
	s_mov_b32 s12, 0x5476071b
	;; [unrolled: 1-line block ×3, first 2 shown]
	v_fma_f64 v[46:47], v[31:32], s[12:13], -v[46:47]
	s_mov_b32 s19, 0xbff2aaaa
	v_fma_f64 v[13:14], v[13:14], s[18:19], v[1:2]
	v_fma_f64 v[23:24], v[23:24], s[6:7], v[29:30]
	v_fma_f64 v[42:43], v[19:20], s[12:13], -v[42:43]
	s_mov_b32 s13, 0xbfe77f67
	v_fma_f64 v[19:20], v[19:20], s[12:13], -v[29:30]
	v_fma_f64 v[25:26], v[25:26], s[18:19], v[3:4]
	v_fma_f64 v[11:12], v[11:12], s[0:1], -v[21:22]
	v_fma_f64 v[7:8], v[7:8], s[2:3], -v[48:49]
	;; [unrolled: 1-line block ×3, first 2 shown]
	v_fma_f64 v[29:30], v[40:41], s[6:7], v[38:39]
	s_mov_b32 s0, 0x37c3f68c
	s_mov_b32 s1, 0xbfdc38aa
	v_add_f64 v[31:32], v[42:43], v[13:14]
	v_add_f64 v[38:39], v[19:20], v[13:14]
	v_add_f64 v[13:14], v[23:24], v[13:14]
	v_add_f64 v[23:24], v[46:47], v[25:26]
	v_fma_f64 v[11:12], v[27:28], s[0:1], v[11:12]
	v_fma_f64 v[9:10], v[17:18], s[0:1], v[9:10]
	v_add_f64 v[21:22], v[21:22], v[25:26]
	v_add_f64 v[29:30], v[29:30], v[25:26]
	v_fma_f64 v[25:26], v[27:28], s[0:1], v[7:8]
	v_fma_f64 v[40:41], v[17:18], s[0:1], v[5:6]
	;; [unrolled: 1-line block ×4, first 2 shown]
	v_add_f64 v[17:18], v[31:32], -v[11:12]
	v_add_f64 v[19:20], v[9:10], v[23:24]
	v_add_f64 v[5:6], v[31:32], v[11:12]
	v_add_f64 v[7:8], v[23:24], -v[9:10]
	v_add_f64 v[9:10], v[38:39], v[25:26]
	v_add_f64 v[11:12], v[21:22], -v[40:41]
	v_add_f64 v[25:26], v[38:39], -v[25:26]
	v_add_f64 v[27:28], v[40:41], v[21:22]
	v_add_f64 v[21:22], v[13:14], v[42:43]
	v_add_f64 v[23:24], v[29:30], -v[15:16]
	v_add_f64 v[13:14], v[13:14], -v[42:43]
	v_add_f64 v[15:16], v[15:16], v[29:30]
	s_movk_i32 s0, 0x60
	v_mad_u32_u24 v29, v37, s0, v35
	v_cmp_eq_u32_e64 s[0:1], 7, v37
	v_cmp_ne_u32_e64 s[2:3], 7, v37
	s_barrier
	ds_write_b128 v29, v[1:4]
	ds_write_b128 v29, v[21:24] offset:16
	ds_write_b128 v29, v[9:12] offset:32
	;; [unrolled: 1-line block ×6, first 2 shown]
	s_waitcnt lgkmcnt(0)
	s_barrier
	s_waitcnt lgkmcnt(0)
                                        ; implicit-def: $vgpr31_vgpr32
	s_and_saveexec_b64 s[6:7], s[2:3]
	s_cbranch_execz .LBB0_15
; %bb.14:
	ds_read_b128 v[1:4], v36
	ds_read_b128 v[21:24], v35 offset:112
	ds_read_b128 v[9:12], v35 offset:224
	;; [unrolled: 1-line block ×7, first 2 shown]
.LBB0_15:
	s_or_b64 exec, exec, s[6:7]
	s_waitcnt lgkmcnt(0)
	s_barrier
	s_and_saveexec_b64 s[6:7], s[2:3]
	s_cbranch_execz .LBB0_17
; %bb.16:
	v_mul_u32_u24_e32 v37, 7, v37
	v_cndmask_b32_e64 v37, v37, 0, s[0:1]
	v_lshlrev_b32_e32 v59, 4, v37
	global_load_dwordx4 v[37:40], v59, s[16:17]
	global_load_dwordx4 v[41:44], v59, s[16:17] offset:64
	global_load_dwordx4 v[45:48], v59, s[16:17] offset:16
	;; [unrolled: 1-line block ×4, first 2 shown]
	s_mov_b32 s0, 0x667f3bcd
	s_mov_b32 s1, 0x3fe6a09e
	;; [unrolled: 1-line block ×4, first 2 shown]
	s_waitcnt vmcnt(4)
	v_mul_f64 v[57:58], v[21:22], v[39:40]
	v_mul_f64 v[39:40], v[23:24], v[39:40]
	v_fma_f64 v[57:58], v[23:24], v[37:38], -v[57:58]
	v_fma_f64 v[37:38], v[21:22], v[37:38], v[39:40]
	s_waitcnt vmcnt(3)
	v_mul_f64 v[39:40], v[25:26], v[43:44]
	v_mul_f64 v[43:44], v[27:28], v[43:44]
	global_load_dwordx4 v[21:24], v59, s[16:17] offset:48
	v_fma_f64 v[39:40], v[27:28], v[41:42], -v[39:40]
	v_fma_f64 v[41:42], v[25:26], v[41:42], v[43:44]
	global_load_dwordx4 v[25:28], v59, s[16:17] offset:96
	s_waitcnt vmcnt(3)
	v_mul_f64 v[43:44], v[19:20], v[51:52]
	v_mul_f64 v[51:52], v[17:18], v[51:52]
	;; [unrolled: 1-line block ×3, first 2 shown]
	v_fma_f64 v[17:18], v[17:18], v[49:50], v[43:44]
	v_mul_f64 v[43:44], v[9:10], v[47:48]
	v_fma_f64 v[19:20], v[19:20], v[49:50], -v[51:52]
	s_waitcnt vmcnt(2)
	v_mul_f64 v[49:50], v[15:16], v[55:56]
	v_fma_f64 v[9:10], v[9:10], v[45:46], v[59:60]
	v_fma_f64 v[11:12], v[11:12], v[45:46], -v[43:44]
	v_mul_f64 v[43:44], v[13:14], v[55:56]
	v_fma_f64 v[13:14], v[13:14], v[53:54], v[49:50]
	v_fma_f64 v[15:16], v[15:16], v[53:54], -v[43:44]
	v_add_f64 v[13:14], v[9:10], -v[13:14]
	v_add_f64 v[15:16], v[11:12], -v[15:16]
	v_fma_f64 v[9:10], v[9:10], 2.0, -v[13:14]
	v_fma_f64 v[11:12], v[11:12], 2.0, -v[15:16]
	s_waitcnt vmcnt(1)
	v_mul_f64 v[47:48], v[5:6], v[23:24]
	v_mul_f64 v[23:24], v[7:8], v[23:24]
	s_waitcnt vmcnt(0)
	v_mul_f64 v[51:52], v[31:32], v[27:28]
	v_mul_f64 v[27:28], v[29:30], v[27:28]
	v_fma_f64 v[7:8], v[7:8], v[21:22], -v[47:48]
	v_fma_f64 v[5:6], v[5:6], v[21:22], v[23:24]
	v_add_f64 v[21:22], v[57:58], -v[39:40]
	v_fma_f64 v[29:30], v[29:30], v[25:26], v[51:52]
	v_fma_f64 v[25:26], v[31:32], v[25:26], -v[27:28]
	v_add_f64 v[7:8], v[3:4], -v[7:8]
	v_add_f64 v[27:28], v[37:38], -v[41:42]
	;; [unrolled: 1-line block ×6, first 2 shown]
	v_fma_f64 v[3:4], v[3:4], 2.0, -v[7:8]
	v_fma_f64 v[37:38], v[37:38], 2.0, -v[27:28]
	;; [unrolled: 1-line block ×3, first 2 shown]
	v_add_f64 v[31:32], v[21:22], -v[23:24]
	v_fma_f64 v[17:18], v[17:18], 2.0, -v[23:24]
	v_fma_f64 v[23:24], v[57:58], 2.0, -v[21:22]
	;; [unrolled: 1-line block ×3, first 2 shown]
	v_add_f64 v[13:14], v[27:28], v[25:26]
	v_add_f64 v[25:26], v[5:6], v[15:16]
	v_add_f64 v[39:40], v[3:4], -v[11:12]
	v_fma_f64 v[41:42], v[7:8], 2.0, -v[29:30]
	v_fma_f64 v[21:22], v[21:22], 2.0, -v[31:32]
	v_add_f64 v[7:8], v[37:38], -v[17:18]
	v_add_f64 v[17:18], v[1:2], -v[9:10]
	v_add_f64 v[11:12], v[23:24], -v[19:20]
	v_fma_f64 v[9:10], v[27:28], 2.0, -v[13:14]
	v_fma_f64 v[43:44], v[5:6], 2.0, -v[25:26]
	v_fma_f64 v[5:6], v[31:32], s[0:1], v[29:30]
	v_fma_f64 v[15:16], v[13:14], s[0:1], v[25:26]
	v_fma_f64 v[45:46], v[3:4], 2.0, -v[39:40]
	v_fma_f64 v[27:28], v[37:38], 2.0, -v[7:8]
	;; [unrolled: 1-line block ×4, first 2 shown]
	v_fma_f64 v[19:20], v[21:22], s[2:3], v[41:42]
	v_fma_f64 v[37:38], v[9:10], s[2:3], v[43:44]
	;; [unrolled: 1-line block ×3, first 2 shown]
	v_add_f64 v[7:8], v[39:40], -v[7:8]
	v_add_f64 v[5:6], v[17:18], v[11:12]
	v_fma_f64 v[1:2], v[31:32], s[0:1], v[15:16]
	v_add_f64 v[13:14], v[47:48], -v[27:28]
	v_add_f64 v[15:16], v[45:46], -v[23:24]
	v_fma_f64 v[11:12], v[9:10], s[2:3], v[19:20]
	v_fma_f64 v[9:10], v[21:22], s[0:1], v[37:38]
	v_fma_f64 v[19:20], v[29:30], 2.0, -v[3:4]
	v_fma_f64 v[23:24], v[39:40], 2.0, -v[7:8]
	;; [unrolled: 1-line block ×8, first 2 shown]
	ds_write_b128 v35, v[5:8] offset:672
	ds_write_b128 v35, v[21:24] offset:224
	;; [unrolled: 1-line block ×5, first 2 shown]
	ds_write_b128 v36, v[29:32]
	ds_write_b128 v35, v[25:28] offset:112
	ds_write_b128 v35, v[1:4] offset:784
.LBB0_17:
	s_or_b64 exec, exec, s[6:7]
	s_mul_i32 s0, s5, s28
	s_mul_hi_u32 s1, s4, s28
	s_add_i32 s0, s1, s0
	s_mul_i32 s1, s4, s28
	v_mov_b32_e32 v2, s0
	v_add_co_u32_e64 v1, s[0:1], s1, v34
	v_addc_co_u32_e64 v2, s[0:1], v2, v33, s[0:1]
	s_andn2_b64 vcc, exec, vcc
	s_mov_b64 s[0:1], -1
	s_waitcnt lgkmcnt(0)
	s_barrier
	s_cbranch_vccz .LBB0_20
; %bb.18:
	s_andn2_b64 vcc, exec, s[0:1]
	s_cbranch_vccz .LBB0_24
.LBB0_19:
	s_endpgm
.LBB0_20:
	s_movk_i32 s0, 0x380
	v_cmp_gt_u32_e32 vcc, s0, v0
	s_and_saveexec_b64 s[0:1], vcc
	s_cbranch_execz .LBB0_23
; %bb.21:
	v_lshlrev_b64 v[3:4], 4, v[1:2]
	v_mov_b32_e32 v5, s15
	v_add_co_u32_e32 v3, vcc, s14, v3
	v_addc_co_u32_e32 v4, vcc, v5, v4, vcc
	v_lshl_add_u32 v5, v0, 4, 0
	s_mov_b64 s[2:3], 0
	s_movk_i32 s4, 0x37f
	v_mov_b32_e32 v6, v0
.LBB0_22:                               ; =>This Inner Loop Header: Depth=1
	v_lshrrev_b16_e32 v11, 3, v6
	v_mul_u32_u24_e32 v11, 0x2493, v11
	v_lshrrev_b32_e32 v15, 16, v11
	v_mul_lo_u16_e32 v13, 56, v15
	v_sub_u16_e32 v17, v6, v13
	v_mad_u64_u32 v[11:12], s[6:7], s10, v15, 0
	v_mad_u64_u32 v[13:14], s[6:7], s8, v17, 0
	v_add_u32_e32 v6, 0x80, v6
	ds_read_b128 v[7:10], v5
	v_mad_u64_u32 v[15:16], s[6:7], s11, v15, v[12:13]
	v_mov_b32_e32 v12, v14
	v_mad_u64_u32 v[16:17], s[6:7], s9, v17, v[12:13]
	v_cmp_lt_u32_e32 vcc, s4, v6
	v_mov_b32_e32 v12, v15
	v_mov_b32_e32 v14, v16
	v_lshlrev_b64 v[13:14], 4, v[13:14]
	s_or_b64 s[2:3], vcc, s[2:3]
	v_lshlrev_b64 v[11:12], 4, v[11:12]
	v_add_co_u32_e32 v13, vcc, v3, v13
	v_addc_co_u32_e32 v14, vcc, v4, v14, vcc
	v_add_co_u32_e32 v11, vcc, v13, v11
	v_add_u32_e32 v5, 0x800, v5
	v_addc_co_u32_e32 v12, vcc, v14, v12, vcc
	s_waitcnt lgkmcnt(0)
	global_store_dwordx4 v[11:12], v[7:10], off
	s_andn2_b64 exec, exec, s[2:3]
	s_cbranch_execnz .LBB0_22
.LBB0_23:
	s_or_b64 exec, exec, s[0:1]
	s_cbranch_execnz .LBB0_19
.LBB0_24:
	v_lshrrev_b16_e32 v3, 3, v0
	v_mul_u32_u24_e32 v3, 0x2493, v3
	v_lshrrev_b32_e32 v9, 16, v3
	v_mul_lo_u16_e32 v3, 56, v9
	v_sub_u16_e32 v7, v0, v3
	v_mad_u64_u32 v[3:4], s[0:1], s8, v7, 0
	v_mad_u64_u32 v[5:6], s[0:1], s10, v9, 0
	v_lshlrev_b64 v[1:2], 4, v[1:2]
	v_lshl_add_u32 v18, v0, 4, 0
	v_mad_u64_u32 v[7:8], s[0:1], s9, v7, v[4:5]
	v_mov_b32_e32 v4, v6
	v_mad_u64_u32 v[8:9], s[0:1], s11, v9, v[4:5]
	v_mov_b32_e32 v4, v7
	v_mov_b32_e32 v7, s15
	v_add_co_u32_e32 v19, vcc, s14, v1
	v_addc_co_u32_e32 v20, vcc, v7, v2, vcc
	v_lshlrev_b64 v[1:2], 4, v[3:4]
	v_mov_b32_e32 v6, v8
	v_add_co_u32_e32 v3, vcc, v19, v1
	v_addc_co_u32_e32 v4, vcc, v20, v2, vcc
	v_lshlrev_b64 v[1:2], 4, v[5:6]
	v_add_u16_e32 v5, 0x80, v0
	v_lshrrev_b16_e32 v6, 3, v5
	v_mul_u32_u24_e32 v6, 0x2493, v6
	v_lshrrev_b32_e32 v6, 16, v6
	v_mul_lo_u16_e32 v7, 56, v6
	v_sub_u16_e32 v5, v5, v7
	v_mad_u64_u32 v[9:10], s[0:1], s8, v5, 0
	v_add_co_u32_e32 v11, vcc, v3, v1
	v_mov_b32_e32 v1, v10
	v_mad_u64_u32 v[13:14], s[0:1], s10, v6, 0
	v_addc_co_u32_e32 v12, vcc, v4, v2, vcc
	v_mad_u64_u32 v[15:16], s[0:1], s9, v5, v[1:2]
	ds_read_b128 v[1:4], v18
	v_mov_b32_e32 v5, v14
	v_mad_u64_u32 v[16:17], s[0:1], s11, v6, v[5:6]
	ds_read_b128 v[5:8], v18 offset:2048
	v_mov_b32_e32 v10, v15
	s_waitcnt lgkmcnt(1)
	global_store_dwordx4 v[11:12], v[1:4], off
	v_mov_b32_e32 v14, v16
	v_lshlrev_b64 v[1:2], 4, v[9:10]
	v_lshlrev_b64 v[3:4], 4, v[13:14]
	v_add_co_u32_e32 v15, vcc, v19, v1
	v_add_u16_e32 v1, 0x100, v0
	v_addc_co_u32_e32 v16, vcc, v20, v2, vcc
	v_lshrrev_b16_e32 v2, 3, v1
	v_mul_u32_u24_e32 v2, 0x2493, v2
	v_lshrrev_b32_e32 v17, 16, v2
	v_mul_lo_u16_e32 v2, 56, v17
	v_sub_u16_e32 v11, v1, v2
	v_mad_u64_u32 v[1:2], s[0:1], s8, v11, 0
	v_mad_u64_u32 v[9:10], s[0:1], s10, v17, 0
	;; [unrolled: 1-line block ×3, first 2 shown]
	v_mov_b32_e32 v2, v10
	v_mad_u64_u32 v[12:13], s[0:1], s11, v17, v[2:3]
	v_add_co_u32_e32 v2, vcc, v15, v3
	v_addc_co_u32_e32 v3, vcc, v16, v4, vcc
	s_waitcnt lgkmcnt(0)
	global_store_dwordx4 v[2:3], v[5:8], off
	v_mov_b32_e32 v2, v11
	v_add_u16_e32 v5, 0x180, v0
	v_lshrrev_b16_e32 v6, 3, v5
	v_mul_u32_u24_e32 v6, 0x2493, v6
	v_lshlrev_b64 v[1:2], 4, v[1:2]
	v_lshrrev_b32_e32 v6, 16, v6
	v_mul_lo_u16_e32 v7, 56, v6
	v_mov_b32_e32 v10, v12
	v_add_co_u32_e32 v3, vcc, v19, v1
	v_sub_u16_e32 v5, v5, v7
	v_addc_co_u32_e32 v4, vcc, v20, v2, vcc
	v_lshlrev_b64 v[1:2], 4, v[9:10]
	v_mad_u64_u32 v[9:10], s[0:1], s8, v5, 0
	v_add_co_u32_e32 v11, vcc, v3, v1
	v_mov_b32_e32 v1, v10
	v_mad_u64_u32 v[13:14], s[0:1], s10, v6, 0
	v_addc_co_u32_e32 v12, vcc, v4, v2, vcc
	v_mad_u64_u32 v[15:16], s[0:1], s9, v5, v[1:2]
	ds_read_b128 v[1:4], v18 offset:4096
	v_mov_b32_e32 v5, v14
	v_mad_u64_u32 v[16:17], s[0:1], s11, v6, v[5:6]
	ds_read_b128 v[5:8], v18 offset:6144
	v_mov_b32_e32 v10, v15
	s_waitcnt lgkmcnt(1)
	global_store_dwordx4 v[11:12], v[1:4], off
	v_mov_b32_e32 v14, v16
	v_lshlrev_b64 v[1:2], 4, v[9:10]
	v_lshlrev_b64 v[3:4], 4, v[13:14]
	v_add_co_u32_e32 v15, vcc, v19, v1
	v_add_u16_e32 v1, 0x200, v0
	v_addc_co_u32_e32 v16, vcc, v20, v2, vcc
	v_lshrrev_b16_e32 v2, 3, v1
	v_mul_u32_u24_e32 v2, 0x2493, v2
	v_lshrrev_b32_e32 v17, 16, v2
	v_mul_lo_u16_e32 v2, 56, v17
	v_sub_u16_e32 v11, v1, v2
	v_mad_u64_u32 v[1:2], s[0:1], s8, v11, 0
	v_mad_u64_u32 v[9:10], s[0:1], s10, v17, 0
	;; [unrolled: 1-line block ×3, first 2 shown]
	v_mov_b32_e32 v2, v10
	v_mad_u64_u32 v[12:13], s[0:1], s11, v17, v[2:3]
	v_add_co_u32_e32 v2, vcc, v15, v3
	v_addc_co_u32_e32 v3, vcc, v16, v4, vcc
	s_waitcnt lgkmcnt(0)
	global_store_dwordx4 v[2:3], v[5:8], off
	v_mov_b32_e32 v2, v11
	v_add_u16_e32 v5, 0x280, v0
	v_lshrrev_b16_e32 v6, 3, v5
	v_mul_u32_u24_e32 v6, 0x2493, v6
	v_lshlrev_b64 v[1:2], 4, v[1:2]
	v_lshrrev_b32_e32 v6, 16, v6
	v_mul_lo_u16_e32 v7, 56, v6
	v_mov_b32_e32 v10, v12
	v_add_co_u32_e32 v3, vcc, v19, v1
	v_sub_u16_e32 v5, v5, v7
	v_addc_co_u32_e32 v4, vcc, v20, v2, vcc
	v_lshlrev_b64 v[1:2], 4, v[9:10]
	v_mad_u64_u32 v[9:10], s[0:1], s8, v5, 0
	v_add_co_u32_e32 v11, vcc, v3, v1
	v_mov_b32_e32 v1, v10
	v_addc_co_u32_e32 v12, vcc, v4, v2, vcc
	v_mad_u64_u32 v[13:14], s[0:1], s10, v6, 0
	v_mad_u64_u32 v[15:16], s[0:1], s9, v5, v[1:2]
	ds_read_b128 v[1:4], v18 offset:8192
	v_mov_b32_e32 v5, v14
	v_mov_b32_e32 v10, v15
	v_mad_u64_u32 v[16:17], s[0:1], s11, v6, v[5:6]
	ds_read_b128 v[5:8], v18 offset:10240
	s_waitcnt lgkmcnt(1)
	global_store_dwordx4 v[11:12], v[1:4], off
	v_add_u16_e32 v0, 0x300, v0
	v_lshlrev_b64 v[1:2], 4, v[9:10]
	v_mov_b32_e32 v14, v16
	v_add_co_u32_e32 v15, vcc, v19, v1
	v_lshrrev_b16_e32 v1, 3, v0
	v_mul_u32_u24_e32 v1, 0x2493, v1
	v_lshrrev_b32_e32 v4, 16, v1
	v_mul_lo_u16_e32 v1, 56, v4
	v_sub_u16_e32 v3, v0, v1
	v_mad_u64_u32 v[9:10], s[0:1], s8, v3, 0
	v_mad_u64_u32 v[11:12], s[0:1], s10, v4, 0
	v_addc_co_u32_e32 v16, vcc, v20, v2, vcc
	v_mov_b32_e32 v2, v10
	v_mad_u64_u32 v[2:3], s[0:1], s9, v3, v[2:3]
	v_lshlrev_b64 v[0:1], 4, v[13:14]
	v_mov_b32_e32 v3, v12
	v_mad_u64_u32 v[3:4], s[0:1], s11, v4, v[3:4]
	v_add_co_u32_e32 v0, vcc, v15, v0
	v_addc_co_u32_e32 v1, vcc, v16, v1, vcc
	v_mov_b32_e32 v10, v2
	s_waitcnt lgkmcnt(0)
	global_store_dwordx4 v[0:1], v[5:8], off
	v_mov_b32_e32 v12, v3
	v_lshlrev_b64 v[4:5], 4, v[9:10]
	ds_read_b128 v[0:3], v18 offset:12288
	v_add_co_u32_e32 v6, vcc, v19, v4
	v_addc_co_u32_e32 v7, vcc, v20, v5, vcc
	v_lshlrev_b64 v[4:5], 4, v[11:12]
	v_add_co_u32_e32 v4, vcc, v6, v4
	v_addc_co_u32_e32 v5, vcc, v7, v5, vcc
	s_waitcnt lgkmcnt(0)
	global_store_dwordx4 v[4:5], v[0:3], off
	s_endpgm
	.section	.rodata,"a",@progbits
	.p2align	6, 0x0
	.amdhsa_kernel fft_rtc_back_len56_factors_7_8_wgs_128_tpt_8_dp_op_CI_CI_sbcr
		.amdhsa_group_segment_fixed_size 0
		.amdhsa_private_segment_fixed_size 0
		.amdhsa_kernarg_size 104
		.amdhsa_user_sgpr_count 6
		.amdhsa_user_sgpr_private_segment_buffer 1
		.amdhsa_user_sgpr_dispatch_ptr 0
		.amdhsa_user_sgpr_queue_ptr 0
		.amdhsa_user_sgpr_kernarg_segment_ptr 1
		.amdhsa_user_sgpr_dispatch_id 0
		.amdhsa_user_sgpr_flat_scratch_init 0
		.amdhsa_user_sgpr_private_segment_size 0
		.amdhsa_uses_dynamic_stack 0
		.amdhsa_system_sgpr_private_segment_wavefront_offset 0
		.amdhsa_system_sgpr_workgroup_id_x 1
		.amdhsa_system_sgpr_workgroup_id_y 0
		.amdhsa_system_sgpr_workgroup_id_z 0
		.amdhsa_system_sgpr_workgroup_info 0
		.amdhsa_system_vgpr_workitem_id 0
		.amdhsa_next_free_vgpr 61
		.amdhsa_next_free_sgpr 51
		.amdhsa_reserve_vcc 1
		.amdhsa_reserve_flat_scratch 0
		.amdhsa_float_round_mode_32 0
		.amdhsa_float_round_mode_16_64 0
		.amdhsa_float_denorm_mode_32 3
		.amdhsa_float_denorm_mode_16_64 3
		.amdhsa_dx10_clamp 1
		.amdhsa_ieee_mode 1
		.amdhsa_fp16_overflow 0
		.amdhsa_exception_fp_ieee_invalid_op 0
		.amdhsa_exception_fp_denorm_src 0
		.amdhsa_exception_fp_ieee_div_zero 0
		.amdhsa_exception_fp_ieee_overflow 0
		.amdhsa_exception_fp_ieee_underflow 0
		.amdhsa_exception_fp_ieee_inexact 0
		.amdhsa_exception_int_div_zero 0
	.end_amdhsa_kernel
	.text
.Lfunc_end0:
	.size	fft_rtc_back_len56_factors_7_8_wgs_128_tpt_8_dp_op_CI_CI_sbcr, .Lfunc_end0-fft_rtc_back_len56_factors_7_8_wgs_128_tpt_8_dp_op_CI_CI_sbcr
                                        ; -- End function
	.section	.AMDGPU.csdata,"",@progbits
; Kernel info:
; codeLenInByte = 5136
; NumSgprs: 55
; NumVgprs: 61
; ScratchSize: 0
; MemoryBound: 0
; FloatMode: 240
; IeeeMode: 1
; LDSByteSize: 0 bytes/workgroup (compile time only)
; SGPRBlocks: 6
; VGPRBlocks: 15
; NumSGPRsForWavesPerEU: 55
; NumVGPRsForWavesPerEU: 61
; Occupancy: 4
; WaveLimiterHint : 1
; COMPUTE_PGM_RSRC2:SCRATCH_EN: 0
; COMPUTE_PGM_RSRC2:USER_SGPR: 6
; COMPUTE_PGM_RSRC2:TRAP_HANDLER: 0
; COMPUTE_PGM_RSRC2:TGID_X_EN: 1
; COMPUTE_PGM_RSRC2:TGID_Y_EN: 0
; COMPUTE_PGM_RSRC2:TGID_Z_EN: 0
; COMPUTE_PGM_RSRC2:TIDIG_COMP_CNT: 0
	.type	__hip_cuid_afe725c3a9722661,@object ; @__hip_cuid_afe725c3a9722661
	.section	.bss,"aw",@nobits
	.globl	__hip_cuid_afe725c3a9722661
__hip_cuid_afe725c3a9722661:
	.byte	0                               ; 0x0
	.size	__hip_cuid_afe725c3a9722661, 1

	.ident	"AMD clang version 19.0.0git (https://github.com/RadeonOpenCompute/llvm-project roc-6.4.0 25133 c7fe45cf4b819c5991fe208aaa96edf142730f1d)"
	.section	".note.GNU-stack","",@progbits
	.addrsig
	.addrsig_sym __hip_cuid_afe725c3a9722661
	.amdgpu_metadata
---
amdhsa.kernels:
  - .args:
      - .actual_access:  read_only
        .address_space:  global
        .offset:         0
        .size:           8
        .value_kind:     global_buffer
      - .offset:         8
        .size:           8
        .value_kind:     by_value
      - .actual_access:  read_only
        .address_space:  global
        .offset:         16
        .size:           8
        .value_kind:     global_buffer
      - .actual_access:  read_only
        .address_space:  global
        .offset:         24
        .size:           8
        .value_kind:     global_buffer
      - .actual_access:  read_only
        .address_space:  global
        .offset:         32
        .size:           8
        .value_kind:     global_buffer
      - .offset:         40
        .size:           8
        .value_kind:     by_value
      - .actual_access:  read_only
        .address_space:  global
        .offset:         48
        .size:           8
        .value_kind:     global_buffer
      - .actual_access:  read_only
        .address_space:  global
        .offset:         56
        .size:           8
        .value_kind:     global_buffer
      - .offset:         64
        .size:           4
        .value_kind:     by_value
      - .actual_access:  read_only
        .address_space:  global
        .offset:         72
        .size:           8
        .value_kind:     global_buffer
      - .actual_access:  read_only
        .address_space:  global
        .offset:         80
        .size:           8
        .value_kind:     global_buffer
      - .actual_access:  read_only
        .address_space:  global
        .offset:         88
        .size:           8
        .value_kind:     global_buffer
      - .actual_access:  write_only
        .address_space:  global
        .offset:         96
        .size:           8
        .value_kind:     global_buffer
    .group_segment_fixed_size: 0
    .kernarg_segment_align: 8
    .kernarg_segment_size: 104
    .language:       OpenCL C
    .language_version:
      - 2
      - 0
    .max_flat_workgroup_size: 128
    .name:           fft_rtc_back_len56_factors_7_8_wgs_128_tpt_8_dp_op_CI_CI_sbcr
    .private_segment_fixed_size: 0
    .sgpr_count:     55
    .sgpr_spill_count: 0
    .symbol:         fft_rtc_back_len56_factors_7_8_wgs_128_tpt_8_dp_op_CI_CI_sbcr.kd
    .uniform_work_group_size: 1
    .uses_dynamic_stack: false
    .vgpr_count:     61
    .vgpr_spill_count: 0
    .wavefront_size: 64
amdhsa.target:   amdgcn-amd-amdhsa--gfx906
amdhsa.version:
  - 1
  - 2
...

	.end_amdgpu_metadata
